;; amdgpu-corpus repo=tuanlda78202/gpt-oss-amd kind=compiled arch=gfx906 opt=O3
	.amdgcn_target "amdgcn-amd-amdhsa--gfx906"
	.amdhsa_code_object_version 6
	.text
	.protected	_Z14rmsnorm_kernelPfS_P14__hip_bfloat16ii ; -- Begin function _Z14rmsnorm_kernelPfS_P14__hip_bfloat16ii
	.globl	_Z14rmsnorm_kernelPfS_P14__hip_bfloat16ii
	.p2align	8
	.type	_Z14rmsnorm_kernelPfS_P14__hip_bfloat16ii,@function
_Z14rmsnorm_kernelPfS_P14__hip_bfloat16ii: ; @_Z14rmsnorm_kernelPfS_P14__hip_bfloat16ii
; %bb.0:
	s_load_dwordx2 s[12:13], s[4:5], 0x18
	s_waitcnt lgkmcnt(0)
	s_cmp_ge_i32 s6, s12
	s_cbranch_scc1 .LBB0_14
; %bb.1:
	s_load_dwordx4 s[8:11], s[4:5], 0x0
	s_load_dwordx2 s[14:15], s[4:5], 0x10
	s_mul_i32 s0, s13, s6
	s_ashr_i32 s1, s0, 31
	s_lshl_b64 s[6:7], s[0:1], 2
	s_waitcnt lgkmcnt(0)
	s_add_u32 s12, s10, s6
	s_addc_u32 s16, s11, s7
	v_cmp_gt_i32_e64 s[0:1], s13, v0
	v_mov_b32_e32 v3, 0
	s_and_saveexec_b64 s[2:3], s[0:1]
	s_cbranch_execz .LBB0_5
; %bb.2:
	s_load_dword s17, s[4:5], 0x2c
	v_mov_b32_e32 v3, 0
	s_mov_b64 s[10:11], 0
	v_mov_b32_e32 v4, s16
	v_mov_b32_e32 v1, v0
	s_waitcnt lgkmcnt(0)
	s_and_b32 s17, s17, 0xffff
.LBB0_3:                                ; =>This Inner Loop Header: Depth=1
	v_ashrrev_i32_e32 v2, 31, v1
	v_lshlrev_b64 v[5:6], 2, v[1:2]
	v_add_u32_e32 v1, s17, v1
	v_add_co_u32_e32 v5, vcc, s12, v5
	v_addc_co_u32_e32 v6, vcc, v4, v6, vcc
	global_load_dword v2, v[5:6], off
	v_cmp_le_i32_e32 vcc, s13, v1
	s_or_b64 s[10:11], vcc, s[10:11]
	s_waitcnt vmcnt(0)
	v_fmac_f32_e32 v3, v2, v2
	s_andn2_b64 exec, exec, s[10:11]
	s_cbranch_execnz .LBB0_3
; %bb.4:
	s_or_b64 exec, exec, s[10:11]
.LBB0_5:
	s_or_b64 exec, exec, s[2:3]
	v_mbcnt_lo_u32_b32 v1, -1, 0
	v_mbcnt_hi_u32_b32 v6, -1, v1
	v_and_b32_e32 v1, 64, v6
	v_add_u32_e32 v8, 64, v1
	v_xor_b32_e32 v1, 32, v6
	v_cmp_lt_i32_e32 vcc, v1, v8
	v_cndmask_b32_e32 v1, v6, v1, vcc
	v_lshlrev_b32_e32 v1, 2, v1
	ds_bpermute_b32 v2, v1, v3
	v_xor_b32_e32 v4, 16, v6
	v_cmp_lt_i32_e32 vcc, v4, v8
	v_xor_b32_e32 v5, 8, v6
	v_xor_b32_e32 v7, 4, v6
	s_waitcnt lgkmcnt(0)
	v_add_f32_e32 v3, v3, v2
	v_cndmask_b32_e32 v2, v6, v4, vcc
	v_lshlrev_b32_e32 v2, 2, v2
	ds_bpermute_b32 v4, v2, v3
	v_cmp_lt_i32_e32 vcc, v5, v8
	v_xor_b32_e32 v9, 2, v6
	v_xor_b32_e32 v10, 1, v6
	s_waitcnt lgkmcnt(0)
	v_add_f32_e32 v4, v3, v4
	v_cndmask_b32_e32 v3, v6, v5, vcc
	v_lshlrev_b32_e32 v3, 2, v3
	ds_bpermute_b32 v5, v3, v4
	v_cmp_lt_i32_e32 vcc, v7, v8
	s_waitcnt lgkmcnt(0)
	v_add_f32_e32 v5, v4, v5
	v_cndmask_b32_e32 v4, v6, v7, vcc
	v_lshlrev_b32_e32 v4, 2, v4
	ds_bpermute_b32 v7, v4, v5
	v_cmp_lt_i32_e32 vcc, v9, v8
	;; [unrolled: 6-line block ×3, first 2 shown]
	v_cndmask_b32_e32 v6, v6, v10, vcc
	v_lshlrev_b32_e32 v6, 2, v6
	v_and_b32_e32 v8, 63, v0
	s_waitcnt lgkmcnt(0)
	v_add_f32_e32 v7, v7, v9
	ds_bpermute_b32 v9, v6, v7
	v_cmp_eq_u32_e32 vcc, 0, v8
	s_and_saveexec_b64 s[2:3], vcc
	s_cbranch_execz .LBB0_7
; %bb.6:
	s_waitcnt lgkmcnt(0)
	v_add_f32_e32 v7, v7, v9
	v_lshrrev_b32_e32 v9, 4, v0
	ds_write_b32 v9, v7
.LBB0_7:
	s_or_b64 exec, exec, s[2:3]
	s_waitcnt lgkmcnt(0)
	s_barrier
	s_load_dword s10, s[4:5], 0x2c
	v_mov_b32_e32 v7, 0
	s_waitcnt lgkmcnt(0)
	s_bfe_u32 s2, s10, 0xa0006
	v_cmp_gt_u32_e32 vcc, s2, v0
	s_and_saveexec_b64 s[2:3], vcc
	s_cbranch_execnz .LBB0_15
; %bb.8:
	s_or_b64 exec, exec, s[2:3]
	v_cmp_gt_u32_e32 vcc, 64, v0
	s_and_saveexec_b64 s[2:3], vcc
	s_cbranch_execnz .LBB0_16
.LBB0_9:
	s_or_b64 exec, exec, s[2:3]
	v_cmp_eq_u32_e32 vcc, 0, v0
	s_and_saveexec_b64 s[4:5], vcc
	s_cbranch_execz .LBB0_11
.LBB0_10:
	v_cvt_f32_i32_e32 v1, s13
	s_waitcnt lgkmcnt(0)
	v_div_scale_f32 v2, s[2:3], v1, v1, v7
	v_div_scale_f32 v3, vcc, v7, v1, v7
	s_mov_b32 s2, 0xf800000
	v_rcp_f32_e32 v4, v2
	v_fma_f32 v5, -v2, v4, 1.0
	v_fmac_f32_e32 v4, v5, v4
	v_mul_f32_e32 v5, v3, v4
	v_fma_f32 v6, -v2, v5, v3
	v_fmac_f32_e32 v5, v6, v4
	v_fma_f32 v2, -v2, v5, v3
	v_div_fmas_f32 v2, v2, v4, v5
	v_mov_b32_e32 v3, 0x260
	v_div_fixup_f32 v1, v2, v1, v7
	v_add_f32_e32 v1, 0x3727c5ac, v1
	v_mul_f32_e32 v2, 0x4f800000, v1
	v_cmp_gt_f32_e32 vcc, s2, v1
	v_cndmask_b32_e32 v1, v1, v2, vcc
	v_sqrt_f32_e32 v2, v1
	v_add_u32_e32 v4, -1, v2
	v_add_u32_e32 v5, 1, v2
	v_fma_f32 v6, -v4, v2, v1
	v_fma_f32 v7, -v5, v2, v1
	v_cmp_ge_f32_e64 s[2:3], 0, v6
	v_cndmask_b32_e64 v2, v2, v4, s[2:3]
	v_cmp_lt_f32_e64 s[2:3], 0, v7
	v_cndmask_b32_e64 v2, v2, v5, s[2:3]
	v_mul_f32_e32 v4, 0x37800000, v2
	v_cndmask_b32_e32 v2, v2, v4, vcc
	v_cmp_class_f32_e32 vcc, v1, v3
	v_cndmask_b32_e32 v1, v2, v1, vcc
	v_div_scale_f32 v2, s[2:3], v1, v1, 1.0
	v_div_scale_f32 v3, vcc, 1.0, v1, 1.0
	v_rcp_f32_e32 v4, v2
	v_fma_f32 v5, -v2, v4, 1.0
	v_fmac_f32_e32 v4, v5, v4
	v_mul_f32_e32 v5, v3, v4
	v_fma_f32 v6, -v2, v5, v3
	v_fmac_f32_e32 v5, v6, v4
	v_fma_f32 v2, -v2, v5, v3
	v_div_fmas_f32 v2, v2, v4, v5
	v_div_fixup_f32 v1, v2, v1, 1.0
	v_mov_b32_e32 v2, 0
	ds_write_b32 v2, v1 offset:64
.LBB0_11:
	s_or_b64 exec, exec, s[4:5]
	s_waitcnt lgkmcnt(0)
	s_barrier
	s_and_saveexec_b64 s[2:3], s[0:1]
	s_cbranch_execz .LBB0_14
; %bb.12:
	v_mov_b32_e32 v1, 0
	ds_read_b32 v2, v1 offset:64
	s_and_b32 s4, 0xffff, s10
	s_add_u32 s5, s8, s6
	s_addc_u32 s0, s9, s7
	s_mov_b64 s[2:3], 0
	v_mov_b32_e32 v3, s15
	v_mov_b32_e32 v4, s16
	;; [unrolled: 1-line block ×3, first 2 shown]
.LBB0_13:                               ; =>This Inner Loop Header: Depth=1
	v_ashrrev_i32_e32 v1, 31, v0
	v_lshlrev_b64 v[6:7], 1, v[0:1]
	v_add_co_u32_e32 v6, vcc, s14, v6
	v_addc_co_u32_e32 v7, vcc, v3, v7, vcc
	global_load_ushort v10, v[6:7], off
	v_lshlrev_b64 v[6:7], 2, v[0:1]
	v_add_u32_e32 v0, s4, v0
	v_add_co_u32_e32 v8, vcc, s12, v6
	v_addc_co_u32_e32 v9, vcc, v4, v7, vcc
	global_load_dword v1, v[8:9], off
	v_cmp_le_i32_e32 vcc, s13, v0
	v_add_co_u32_e64 v6, s[0:1], s5, v6
	v_addc_co_u32_e64 v7, s[0:1], v5, v7, s[0:1]
	s_or_b64 s[2:3], vcc, s[2:3]
	s_waitcnt vmcnt(1)
	v_lshlrev_b32_e32 v8, 16, v10
	s_waitcnt lgkmcnt(0)
	v_mul_f32_e32 v8, v2, v8
	s_waitcnt vmcnt(0)
	v_mul_f32_e32 v1, v1, v8
	global_store_dword v[6:7], v1, off
	s_andn2_b64 exec, exec, s[2:3]
	s_cbranch_execnz .LBB0_13
.LBB0_14:
	s_endpgm
.LBB0_15:
	v_lshlrev_b32_e32 v7, 2, v8
	ds_read_b32 v7, v7
	s_or_b64 exec, exec, s[2:3]
	v_cmp_gt_u32_e32 vcc, 64, v0
	s_and_saveexec_b64 s[2:3], vcc
	s_cbranch_execz .LBB0_9
.LBB0_16:
	s_waitcnt lgkmcnt(0)
	ds_bpermute_b32 v1, v1, v7
	s_waitcnt lgkmcnt(0)
	v_add_f32_e32 v1, v7, v1
	ds_bpermute_b32 v2, v2, v1
	s_waitcnt lgkmcnt(0)
	v_add_f32_e32 v1, v1, v2
	;; [unrolled: 3-line block ×6, first 2 shown]
	s_or_b64 exec, exec, s[2:3]
	v_cmp_eq_u32_e32 vcc, 0, v0
	s_and_saveexec_b64 s[4:5], vcc
	s_cbranch_execnz .LBB0_10
	s_branch .LBB0_11
	.section	.rodata,"a",@progbits
	.p2align	6, 0x0
	.amdhsa_kernel _Z14rmsnorm_kernelPfS_P14__hip_bfloat16ii
		.amdhsa_group_segment_fixed_size 68
		.amdhsa_private_segment_fixed_size 0
		.amdhsa_kernarg_size 288
		.amdhsa_user_sgpr_count 6
		.amdhsa_user_sgpr_private_segment_buffer 1
		.amdhsa_user_sgpr_dispatch_ptr 0
		.amdhsa_user_sgpr_queue_ptr 0
		.amdhsa_user_sgpr_kernarg_segment_ptr 1
		.amdhsa_user_sgpr_dispatch_id 0
		.amdhsa_user_sgpr_flat_scratch_init 0
		.amdhsa_user_sgpr_private_segment_size 0
		.amdhsa_uses_dynamic_stack 0
		.amdhsa_system_sgpr_private_segment_wavefront_offset 0
		.amdhsa_system_sgpr_workgroup_id_x 1
		.amdhsa_system_sgpr_workgroup_id_y 0
		.amdhsa_system_sgpr_workgroup_id_z 0
		.amdhsa_system_sgpr_workgroup_info 0
		.amdhsa_system_vgpr_workitem_id 0
		.amdhsa_next_free_vgpr 11
		.amdhsa_next_free_sgpr 18
		.amdhsa_reserve_vcc 1
		.amdhsa_reserve_flat_scratch 0
		.amdhsa_float_round_mode_32 0
		.amdhsa_float_round_mode_16_64 0
		.amdhsa_float_denorm_mode_32 3
		.amdhsa_float_denorm_mode_16_64 3
		.amdhsa_dx10_clamp 1
		.amdhsa_ieee_mode 1
		.amdhsa_fp16_overflow 0
		.amdhsa_exception_fp_ieee_invalid_op 0
		.amdhsa_exception_fp_denorm_src 0
		.amdhsa_exception_fp_ieee_div_zero 0
		.amdhsa_exception_fp_ieee_overflow 0
		.amdhsa_exception_fp_ieee_underflow 0
		.amdhsa_exception_fp_ieee_inexact 0
		.amdhsa_exception_int_div_zero 0
	.end_amdhsa_kernel
	.text
.Lfunc_end0:
	.size	_Z14rmsnorm_kernelPfS_P14__hip_bfloat16ii, .Lfunc_end0-_Z14rmsnorm_kernelPfS_P14__hip_bfloat16ii
                                        ; -- End function
	.set _Z14rmsnorm_kernelPfS_P14__hip_bfloat16ii.num_vgpr, 11
	.set _Z14rmsnorm_kernelPfS_P14__hip_bfloat16ii.num_agpr, 0
	.set _Z14rmsnorm_kernelPfS_P14__hip_bfloat16ii.numbered_sgpr, 18
	.set _Z14rmsnorm_kernelPfS_P14__hip_bfloat16ii.num_named_barrier, 0
	.set _Z14rmsnorm_kernelPfS_P14__hip_bfloat16ii.private_seg_size, 0
	.set _Z14rmsnorm_kernelPfS_P14__hip_bfloat16ii.uses_vcc, 1
	.set _Z14rmsnorm_kernelPfS_P14__hip_bfloat16ii.uses_flat_scratch, 0
	.set _Z14rmsnorm_kernelPfS_P14__hip_bfloat16ii.has_dyn_sized_stack, 0
	.set _Z14rmsnorm_kernelPfS_P14__hip_bfloat16ii.has_recursion, 0
	.set _Z14rmsnorm_kernelPfS_P14__hip_bfloat16ii.has_indirect_call, 0
	.section	.AMDGPU.csdata,"",@progbits
; Kernel info:
; codeLenInByte = 1124
; TotalNumSgprs: 22
; NumVgprs: 11
; ScratchSize: 0
; MemoryBound: 0
; FloatMode: 240
; IeeeMode: 1
; LDSByteSize: 68 bytes/workgroup (compile time only)
; SGPRBlocks: 2
; VGPRBlocks: 2
; NumSGPRsForWavesPerEU: 22
; NumVGPRsForWavesPerEU: 11
; Occupancy: 10
; WaveLimiterHint : 0
; COMPUTE_PGM_RSRC2:SCRATCH_EN: 0
; COMPUTE_PGM_RSRC2:USER_SGPR: 6
; COMPUTE_PGM_RSRC2:TRAP_HANDLER: 0
; COMPUTE_PGM_RSRC2:TGID_X_EN: 1
; COMPUTE_PGM_RSRC2:TGID_Y_EN: 0
; COMPUTE_PGM_RSRC2:TGID_Z_EN: 0
; COMPUTE_PGM_RSRC2:TIDIG_COMP_CNT: 0
	.section	.AMDGPU.gpr_maximums,"",@progbits
	.set amdgpu.max_num_vgpr, 0
	.set amdgpu.max_num_agpr, 0
	.set amdgpu.max_num_sgpr, 0
	.section	.AMDGPU.csdata,"",@progbits
	.type	__hip_cuid_877379281ad54159,@object ; @__hip_cuid_877379281ad54159
	.section	.bss,"aw",@nobits
	.globl	__hip_cuid_877379281ad54159
__hip_cuid_877379281ad54159:
	.byte	0                               ; 0x0
	.size	__hip_cuid_877379281ad54159, 1

	.ident	"AMD clang version 22.0.0git (https://github.com/RadeonOpenCompute/llvm-project roc-7.2.4 26084 f58b06dce1f9c15707c5f808fd002e18c2accf7e)"
	.section	".note.GNU-stack","",@progbits
	.addrsig
	.addrsig_sym __hip_cuid_877379281ad54159
	.amdgpu_metadata
---
amdhsa.kernels:
  - .args:
      - .address_space:  global
        .offset:         0
        .size:           8
        .value_kind:     global_buffer
      - .address_space:  global
        .offset:         8
        .size:           8
        .value_kind:     global_buffer
      - .address_space:  global
        .offset:         16
        .size:           8
        .value_kind:     global_buffer
      - .offset:         24
        .size:           4
        .value_kind:     by_value
      - .offset:         28
        .size:           4
        .value_kind:     by_value
      - .offset:         32
        .size:           4
        .value_kind:     hidden_block_count_x
      - .offset:         36
        .size:           4
        .value_kind:     hidden_block_count_y
      - .offset:         40
        .size:           4
        .value_kind:     hidden_block_count_z
      - .offset:         44
        .size:           2
        .value_kind:     hidden_group_size_x
      - .offset:         46
        .size:           2
        .value_kind:     hidden_group_size_y
      - .offset:         48
        .size:           2
        .value_kind:     hidden_group_size_z
      - .offset:         50
        .size:           2
        .value_kind:     hidden_remainder_x
      - .offset:         52
        .size:           2
        .value_kind:     hidden_remainder_y
      - .offset:         54
        .size:           2
        .value_kind:     hidden_remainder_z
      - .offset:         72
        .size:           8
        .value_kind:     hidden_global_offset_x
      - .offset:         80
        .size:           8
        .value_kind:     hidden_global_offset_y
      - .offset:         88
        .size:           8
        .value_kind:     hidden_global_offset_z
      - .offset:         96
        .size:           2
        .value_kind:     hidden_grid_dims
    .group_segment_fixed_size: 68
    .kernarg_segment_align: 8
    .kernarg_segment_size: 288
    .language:       OpenCL C
    .language_version:
      - 2
      - 0
    .max_flat_workgroup_size: 1024
    .name:           _Z14rmsnorm_kernelPfS_P14__hip_bfloat16ii
    .private_segment_fixed_size: 0
    .sgpr_count:     22
    .sgpr_spill_count: 0
    .symbol:         _Z14rmsnorm_kernelPfS_P14__hip_bfloat16ii.kd
    .uniform_work_group_size: 1
    .uses_dynamic_stack: false
    .vgpr_count:     11
    .vgpr_spill_count: 0
    .wavefront_size: 64
amdhsa.target:   amdgcn-amd-amdhsa--gfx906
amdhsa.version:
  - 1
  - 2
...

	.end_amdgpu_metadata
